;; amdgpu-corpus repo=ROCm/rocFFT kind=compiled arch=gfx1201 opt=O3
	.text
	.amdgcn_target "amdgcn-amd-amdhsa--gfx1201"
	.amdhsa_code_object_version 6
	.protected	fft_rtc_fwd_len1089_factors_3_11_3_11_wgs_121_tpt_121_half_ip_CI_sbrr_dirReg ; -- Begin function fft_rtc_fwd_len1089_factors_3_11_3_11_wgs_121_tpt_121_half_ip_CI_sbrr_dirReg
	.globl	fft_rtc_fwd_len1089_factors_3_11_3_11_wgs_121_tpt_121_half_ip_CI_sbrr_dirReg
	.p2align	8
	.type	fft_rtc_fwd_len1089_factors_3_11_3_11_wgs_121_tpt_121_half_ip_CI_sbrr_dirReg,@function
fft_rtc_fwd_len1089_factors_3_11_3_11_wgs_121_tpt_121_half_ip_CI_sbrr_dirReg: ; @fft_rtc_fwd_len1089_factors_3_11_3_11_wgs_121_tpt_121_half_ip_CI_sbrr_dirReg
; %bb.0:
	s_clause 0x2
	s_load_b64 s[12:13], s[0:1], 0x18
	s_load_b128 s[4:7], s[0:1], 0x0
	s_load_b64 s[10:11], s[0:1], 0x50
	v_mul_u32_u24_e32 v1, 0x21e, v0
	v_mov_b32_e32 v3, 0
	s_delay_alu instid0(VALU_DEP_2) | instskip(NEXT) | instid1(VALU_DEP_1)
	v_lshrrev_b32_e32 v1, 16, v1
	v_add_nc_u32_e32 v5, ttmp9, v1
	v_mov_b32_e32 v1, 0
	v_mov_b32_e32 v2, 0
	;; [unrolled: 1-line block ×3, first 2 shown]
	s_wait_kmcnt 0x0
	s_load_b64 s[8:9], s[12:13], 0x0
	v_cmp_lt_u64_e64 s2, s[6:7], 2
	s_delay_alu instid0(VALU_DEP_1)
	s_and_b32 vcc_lo, exec_lo, s2
	s_cbranch_vccnz .LBB0_8
; %bb.1:
	s_load_b64 s[2:3], s[0:1], 0x10
	v_mov_b32_e32 v1, 0
	v_mov_b32_e32 v2, 0
	s_add_nc_u64 s[14:15], s[12:13], 8
	s_mov_b64 s[16:17], 1
	s_wait_kmcnt 0x0
	s_add_nc_u64 s[18:19], s[2:3], 8
	s_mov_b32 s3, 0
.LBB0_2:                                ; =>This Inner Loop Header: Depth=1
	s_load_b64 s[20:21], s[18:19], 0x0
                                        ; implicit-def: $vgpr7_vgpr8
	s_mov_b32 s2, exec_lo
	s_wait_kmcnt 0x0
	v_or_b32_e32 v4, s21, v6
	s_delay_alu instid0(VALU_DEP_1)
	v_cmpx_ne_u64_e32 0, v[3:4]
	s_wait_alu 0xfffe
	s_xor_b32 s22, exec_lo, s2
	s_cbranch_execz .LBB0_4
; %bb.3:                                ;   in Loop: Header=BB0_2 Depth=1
	s_cvt_f32_u32 s2, s20
	s_cvt_f32_u32 s23, s21
	s_sub_nc_u64 s[26:27], 0, s[20:21]
	s_wait_alu 0xfffe
	s_delay_alu instid0(SALU_CYCLE_1) | instskip(SKIP_1) | instid1(SALU_CYCLE_2)
	s_fmamk_f32 s2, s23, 0x4f800000, s2
	s_wait_alu 0xfffe
	v_s_rcp_f32 s2, s2
	s_delay_alu instid0(TRANS32_DEP_1) | instskip(SKIP_1) | instid1(SALU_CYCLE_2)
	s_mul_f32 s2, s2, 0x5f7ffffc
	s_wait_alu 0xfffe
	s_mul_f32 s23, s2, 0x2f800000
	s_wait_alu 0xfffe
	s_delay_alu instid0(SALU_CYCLE_2) | instskip(SKIP_1) | instid1(SALU_CYCLE_2)
	s_trunc_f32 s23, s23
	s_wait_alu 0xfffe
	s_fmamk_f32 s2, s23, 0xcf800000, s2
	s_cvt_u32_f32 s25, s23
	s_wait_alu 0xfffe
	s_delay_alu instid0(SALU_CYCLE_1) | instskip(SKIP_1) | instid1(SALU_CYCLE_2)
	s_cvt_u32_f32 s24, s2
	s_wait_alu 0xfffe
	s_mul_u64 s[28:29], s[26:27], s[24:25]
	s_wait_alu 0xfffe
	s_mul_hi_u32 s31, s24, s29
	s_mul_i32 s30, s24, s29
	s_mul_hi_u32 s2, s24, s28
	s_mul_i32 s33, s25, s28
	s_wait_alu 0xfffe
	s_add_nc_u64 s[30:31], s[2:3], s[30:31]
	s_mul_hi_u32 s23, s25, s28
	s_mul_hi_u32 s34, s25, s29
	s_add_co_u32 s2, s30, s33
	s_wait_alu 0xfffe
	s_add_co_ci_u32 s2, s31, s23
	s_mul_i32 s28, s25, s29
	s_add_co_ci_u32 s29, s34, 0
	s_wait_alu 0xfffe
	s_add_nc_u64 s[28:29], s[2:3], s[28:29]
	s_wait_alu 0xfffe
	v_add_co_u32 v4, s2, s24, s28
	s_delay_alu instid0(VALU_DEP_1) | instskip(SKIP_1) | instid1(VALU_DEP_1)
	s_cmp_lg_u32 s2, 0
	s_add_co_ci_u32 s25, s25, s29
	v_readfirstlane_b32 s24, v4
	s_wait_alu 0xfffe
	s_delay_alu instid0(VALU_DEP_1)
	s_mul_u64 s[26:27], s[26:27], s[24:25]
	s_wait_alu 0xfffe
	s_mul_hi_u32 s29, s24, s27
	s_mul_i32 s28, s24, s27
	s_mul_hi_u32 s2, s24, s26
	s_mul_i32 s30, s25, s26
	s_wait_alu 0xfffe
	s_add_nc_u64 s[28:29], s[2:3], s[28:29]
	s_mul_hi_u32 s23, s25, s26
	s_mul_hi_u32 s24, s25, s27
	s_wait_alu 0xfffe
	s_add_co_u32 s2, s28, s30
	s_add_co_ci_u32 s2, s29, s23
	s_mul_i32 s26, s25, s27
	s_add_co_ci_u32 s27, s24, 0
	s_wait_alu 0xfffe
	s_add_nc_u64 s[26:27], s[2:3], s[26:27]
	s_wait_alu 0xfffe
	v_add_co_u32 v4, s2, v4, s26
	s_delay_alu instid0(VALU_DEP_1) | instskip(SKIP_1) | instid1(VALU_DEP_1)
	s_cmp_lg_u32 s2, 0
	s_add_co_ci_u32 s2, s25, s27
	v_mul_hi_u32 v13, v5, v4
	s_wait_alu 0xfffe
	v_mad_co_u64_u32 v[7:8], null, v5, s2, 0
	v_mad_co_u64_u32 v[9:10], null, v6, v4, 0
	;; [unrolled: 1-line block ×3, first 2 shown]
	s_delay_alu instid0(VALU_DEP_3) | instskip(SKIP_1) | instid1(VALU_DEP_4)
	v_add_co_u32 v4, vcc_lo, v13, v7
	s_wait_alu 0xfffd
	v_add_co_ci_u32_e32 v7, vcc_lo, 0, v8, vcc_lo
	s_delay_alu instid0(VALU_DEP_2) | instskip(SKIP_1) | instid1(VALU_DEP_2)
	v_add_co_u32 v4, vcc_lo, v4, v9
	s_wait_alu 0xfffd
	v_add_co_ci_u32_e32 v4, vcc_lo, v7, v10, vcc_lo
	s_wait_alu 0xfffd
	v_add_co_ci_u32_e32 v7, vcc_lo, 0, v12, vcc_lo
	s_delay_alu instid0(VALU_DEP_2) | instskip(SKIP_1) | instid1(VALU_DEP_2)
	v_add_co_u32 v4, vcc_lo, v4, v11
	s_wait_alu 0xfffd
	v_add_co_ci_u32_e32 v9, vcc_lo, 0, v7, vcc_lo
	s_delay_alu instid0(VALU_DEP_2) | instskip(SKIP_1) | instid1(VALU_DEP_3)
	v_mul_lo_u32 v10, s21, v4
	v_mad_co_u64_u32 v[7:8], null, s20, v4, 0
	v_mul_lo_u32 v11, s20, v9
	s_delay_alu instid0(VALU_DEP_2) | instskip(NEXT) | instid1(VALU_DEP_2)
	v_sub_co_u32 v7, vcc_lo, v5, v7
	v_add3_u32 v8, v8, v11, v10
	s_delay_alu instid0(VALU_DEP_1) | instskip(SKIP_1) | instid1(VALU_DEP_1)
	v_sub_nc_u32_e32 v10, v6, v8
	s_wait_alu 0xfffd
	v_subrev_co_ci_u32_e64 v10, s2, s21, v10, vcc_lo
	v_add_co_u32 v11, s2, v4, 2
	s_wait_alu 0xf1ff
	v_add_co_ci_u32_e64 v12, s2, 0, v9, s2
	v_sub_co_u32 v13, s2, v7, s20
	v_sub_co_ci_u32_e32 v8, vcc_lo, v6, v8, vcc_lo
	s_wait_alu 0xf1ff
	v_subrev_co_ci_u32_e64 v10, s2, 0, v10, s2
	s_delay_alu instid0(VALU_DEP_3) | instskip(NEXT) | instid1(VALU_DEP_3)
	v_cmp_le_u32_e32 vcc_lo, s20, v13
	v_cmp_eq_u32_e64 s2, s21, v8
	s_wait_alu 0xfffd
	v_cndmask_b32_e64 v13, 0, -1, vcc_lo
	v_cmp_le_u32_e32 vcc_lo, s21, v10
	s_wait_alu 0xfffd
	v_cndmask_b32_e64 v14, 0, -1, vcc_lo
	v_cmp_le_u32_e32 vcc_lo, s20, v7
	;; [unrolled: 3-line block ×3, first 2 shown]
	s_wait_alu 0xfffd
	v_cndmask_b32_e64 v15, 0, -1, vcc_lo
	v_cmp_eq_u32_e32 vcc_lo, s21, v10
	s_wait_alu 0xf1ff
	s_delay_alu instid0(VALU_DEP_2)
	v_cndmask_b32_e64 v7, v15, v7, s2
	s_wait_alu 0xfffd
	v_cndmask_b32_e32 v10, v14, v13, vcc_lo
	v_add_co_u32 v13, vcc_lo, v4, 1
	s_wait_alu 0xfffd
	v_add_co_ci_u32_e32 v14, vcc_lo, 0, v9, vcc_lo
	s_delay_alu instid0(VALU_DEP_3) | instskip(SKIP_2) | instid1(VALU_DEP_3)
	v_cmp_ne_u32_e32 vcc_lo, 0, v10
	s_wait_alu 0xfffd
	v_cndmask_b32_e32 v10, v13, v11, vcc_lo
	v_cndmask_b32_e32 v8, v14, v12, vcc_lo
	v_cmp_ne_u32_e32 vcc_lo, 0, v7
	s_wait_alu 0xfffd
	s_delay_alu instid0(VALU_DEP_2)
	v_dual_cndmask_b32 v7, v4, v10 :: v_dual_cndmask_b32 v8, v9, v8
.LBB0_4:                                ;   in Loop: Header=BB0_2 Depth=1
	s_wait_alu 0xfffe
	s_and_not1_saveexec_b32 s2, s22
	s_cbranch_execz .LBB0_6
; %bb.5:                                ;   in Loop: Header=BB0_2 Depth=1
	v_cvt_f32_u32_e32 v4, s20
	s_sub_co_i32 s22, 0, s20
	s_delay_alu instid0(VALU_DEP_1) | instskip(NEXT) | instid1(TRANS32_DEP_1)
	v_rcp_iflag_f32_e32 v4, v4
	v_mul_f32_e32 v4, 0x4f7ffffe, v4
	s_delay_alu instid0(VALU_DEP_1) | instskip(SKIP_1) | instid1(VALU_DEP_1)
	v_cvt_u32_f32_e32 v4, v4
	s_wait_alu 0xfffe
	v_mul_lo_u32 v7, s22, v4
	s_delay_alu instid0(VALU_DEP_1) | instskip(NEXT) | instid1(VALU_DEP_1)
	v_mul_hi_u32 v7, v4, v7
	v_add_nc_u32_e32 v4, v4, v7
	s_delay_alu instid0(VALU_DEP_1) | instskip(NEXT) | instid1(VALU_DEP_1)
	v_mul_hi_u32 v4, v5, v4
	v_mul_lo_u32 v7, v4, s20
	v_add_nc_u32_e32 v8, 1, v4
	s_delay_alu instid0(VALU_DEP_2) | instskip(NEXT) | instid1(VALU_DEP_1)
	v_sub_nc_u32_e32 v7, v5, v7
	v_subrev_nc_u32_e32 v9, s20, v7
	v_cmp_le_u32_e32 vcc_lo, s20, v7
	s_wait_alu 0xfffd
	s_delay_alu instid0(VALU_DEP_2) | instskip(NEXT) | instid1(VALU_DEP_1)
	v_dual_cndmask_b32 v7, v7, v9 :: v_dual_cndmask_b32 v4, v4, v8
	v_cmp_le_u32_e32 vcc_lo, s20, v7
	s_delay_alu instid0(VALU_DEP_2) | instskip(SKIP_1) | instid1(VALU_DEP_1)
	v_add_nc_u32_e32 v8, 1, v4
	s_wait_alu 0xfffd
	v_dual_cndmask_b32 v7, v4, v8 :: v_dual_mov_b32 v8, v3
.LBB0_6:                                ;   in Loop: Header=BB0_2 Depth=1
	s_wait_alu 0xfffe
	s_or_b32 exec_lo, exec_lo, s2
	s_load_b64 s[22:23], s[14:15], 0x0
	s_delay_alu instid0(VALU_DEP_1)
	v_mul_lo_u32 v4, v8, s20
	v_mul_lo_u32 v11, v7, s21
	v_mad_co_u64_u32 v[9:10], null, v7, s20, 0
	s_add_nc_u64 s[16:17], s[16:17], 1
	s_add_nc_u64 s[14:15], s[14:15], 8
	s_wait_alu 0xfffe
	v_cmp_ge_u64_e64 s2, s[16:17], s[6:7]
	s_add_nc_u64 s[18:19], s[18:19], 8
	s_delay_alu instid0(VALU_DEP_2) | instskip(NEXT) | instid1(VALU_DEP_3)
	v_add3_u32 v4, v10, v11, v4
	v_sub_co_u32 v5, vcc_lo, v5, v9
	s_wait_alu 0xfffd
	s_delay_alu instid0(VALU_DEP_2) | instskip(SKIP_3) | instid1(VALU_DEP_2)
	v_sub_co_ci_u32_e32 v4, vcc_lo, v6, v4, vcc_lo
	s_and_b32 vcc_lo, exec_lo, s2
	s_wait_kmcnt 0x0
	v_mul_lo_u32 v6, s23, v5
	v_mul_lo_u32 v4, s22, v4
	v_mad_co_u64_u32 v[1:2], null, s22, v5, v[1:2]
	s_delay_alu instid0(VALU_DEP_1)
	v_add3_u32 v2, v6, v2, v4
	s_wait_alu 0xfffe
	s_cbranch_vccnz .LBB0_9
; %bb.7:                                ;   in Loop: Header=BB0_2 Depth=1
	v_dual_mov_b32 v5, v7 :: v_dual_mov_b32 v6, v8
	s_branch .LBB0_2
.LBB0_8:
	v_dual_mov_b32 v8, v6 :: v_dual_mov_b32 v7, v5
.LBB0_9:
	s_lshl_b64 s[2:3], s[6:7], 3
	v_mul_hi_u32 v3, 0x21d9eae, v0
	s_wait_alu 0xfffe
	s_add_nc_u64 s[2:3], s[12:13], s[2:3]
	s_load_b64 s[2:3], s[2:3], 0x0
	s_load_b64 s[0:1], s[0:1], 0x20
	s_delay_alu instid0(VALU_DEP_1) | instskip(NEXT) | instid1(VALU_DEP_1)
	v_mul_u32_u24_e32 v3, 0x79, v3
	v_sub_nc_u32_e32 v22, v0, v3
	s_delay_alu instid0(VALU_DEP_1)
	v_add_nc_u32_e32 v12, 0x79, v22
	v_add_nc_u32_e32 v13, 0xf2, v22
	s_wait_kmcnt 0x0
	v_mul_lo_u32 v4, s2, v8
	v_mul_lo_u32 v5, s3, v7
	v_mad_co_u64_u32 v[1:2], null, s2, v7, v[1:2]
	v_cmp_gt_u64_e32 vcc_lo, s[0:1], v[7:8]
	v_cmp_le_u64_e64 s0, s[0:1], v[7:8]
	s_delay_alu instid0(VALU_DEP_3) | instskip(NEXT) | instid1(VALU_DEP_2)
	v_add3_u32 v2, v5, v2, v4
	s_and_saveexec_b32 s1, s0
	s_wait_alu 0xfffe
	s_xor_b32 s0, exec_lo, s1
; %bb.10:
	v_add_nc_u32_e32 v12, 0x79, v22
	v_add_nc_u32_e32 v13, 0xf2, v22
; %bb.11:
	s_wait_alu 0xfffe
	s_or_saveexec_b32 s1, s0
	v_lshlrev_b64_e32 v[8:9], 2, v[1:2]
                                        ; implicit-def: $vgpr1
                                        ; implicit-def: $vgpr2
                                        ; implicit-def: $vgpr0
                                        ; implicit-def: $vgpr10
                                        ; implicit-def: $vgpr6
                                        ; implicit-def: $vgpr4
                                        ; implicit-def: $vgpr7
                                        ; implicit-def: $vgpr11
                                        ; implicit-def: $vgpr3
	s_wait_alu 0xfffe
	s_xor_b32 exec_lo, exec_lo, s1
	s_cbranch_execz .LBB0_13
; %bb.12:
	v_add_nc_u32_e32 v14, 0x16b, v22
	v_mad_co_u64_u32 v[0:1], null, s8, v22, 0
	v_mad_co_u64_u32 v[10:11], null, s8, v12, 0
	s_delay_alu instid0(VALU_DEP_3)
	v_mad_co_u64_u32 v[2:3], null, s8, v14, 0
	v_add_nc_u32_e32 v29, 0x3c8, v22
	v_add_co_u32 v27, s0, s10, v8
	s_wait_alu 0xf1ff
	v_add_co_ci_u32_e64 v28, s0, s11, v9, s0
	v_add_nc_u32_e32 v18, 0x1e4, v22
	v_mad_co_u64_u32 v[6:7], null, s9, v22, v[1:2]
	v_dual_mov_b32 v1, v3 :: v_dual_add_nc_u32 v16, 0x2d6, v22
	v_add_nc_u32_e32 v26, 0x25d, v22
	s_delay_alu instid0(VALU_DEP_2) | instskip(NEXT) | instid1(VALU_DEP_4)
	v_mad_co_u64_u32 v[14:15], null, s9, v14, v[1:2]
	v_mov_b32_e32 v1, v6
	s_delay_alu instid0(VALU_DEP_4) | instskip(NEXT) | instid1(VALU_DEP_2)
	v_mad_co_u64_u32 v[4:5], null, s8, v16, 0
	v_lshlrev_b64_e32 v[0:1], 2, v[0:1]
	s_delay_alu instid0(VALU_DEP_4) | instskip(SKIP_1) | instid1(VALU_DEP_4)
	v_mov_b32_e32 v3, v14
	v_mad_co_u64_u32 v[14:15], null, s8, v18, 0
	v_mad_co_u64_u32 v[5:6], null, s9, v16, v[5:6]
	v_mov_b32_e32 v6, v11
	s_delay_alu instid0(VALU_DEP_4)
	v_lshlrev_b64_e32 v[2:3], 2, v[2:3]
	v_add_co_u32 v0, s0, v27, v0
	s_wait_alu 0xf1ff
	v_add_co_ci_u32_e64 v1, s0, v28, v1, s0
	v_mad_co_u64_u32 v[6:7], null, s9, v12, v[6:7]
	v_dual_mov_b32 v7, v15 :: v_dual_add_nc_u32 v20, 0x34f, v22
	v_lshlrev_b64_e32 v[4:5], 2, v[4:5]
	v_add_co_u32 v2, s0, v27, v2
	s_wait_alu 0xf1ff
	v_add_co_ci_u32_e64 v3, s0, v28, v3, s0
	v_mov_b32_e32 v11, v6
	v_mad_co_u64_u32 v[16:17], null, s8, v20, 0
	v_mad_co_u64_u32 v[6:7], null, s9, v18, v[7:8]
	;; [unrolled: 1-line block ×3, first 2 shown]
	s_delay_alu instid0(VALU_DEP_4)
	v_lshlrev_b64_e32 v[10:11], 2, v[10:11]
	v_add_co_u32 v4, s0, v27, v4
	v_mov_b32_e32 v7, v17
	v_mov_b32_e32 v15, v6
	s_wait_alu 0xf1ff
	v_add_co_ci_u32_e64 v5, s0, v28, v5, s0
	v_add_co_u32 v10, s0, v27, v10
	v_mad_co_u64_u32 v[6:7], null, s9, v20, v[7:8]
	v_mad_co_u64_u32 v[20:21], null, s8, v26, 0
	v_mov_b32_e32 v7, v19
	v_lshlrev_b64_e32 v[14:15], 2, v[14:15]
	s_wait_alu 0xf1ff
	v_add_co_ci_u32_e64 v11, s0, v28, v11, s0
	v_mov_b32_e32 v17, v6
	v_mad_co_u64_u32 v[23:24], null, s9, v13, v[7:8]
	v_mad_co_u64_u32 v[24:25], null, s8, v29, 0
	v_mov_b32_e32 v7, v21
	s_delay_alu instid0(VALU_DEP_4) | instskip(SKIP_2) | instid1(VALU_DEP_4)
	v_lshlrev_b64_e32 v[16:17], 2, v[16:17]
	v_add_co_u32 v14, s0, v27, v14
	v_mov_b32_e32 v19, v23
	v_mad_co_u64_u32 v[6:7], null, s9, v26, v[7:8]
	v_mov_b32_e32 v7, v25
	s_wait_alu 0xf1ff
	v_add_co_ci_u32_e64 v15, s0, v28, v15, s0
	v_lshlrev_b64_e32 v[18:19], 2, v[18:19]
	v_add_co_u32 v16, s0, v27, v16
	v_mad_co_u64_u32 v[25:26], null, s9, v29, v[7:8]
	v_mov_b32_e32 v21, v6
	s_wait_alu 0xf1ff
	v_add_co_ci_u32_e64 v17, s0, v28, v17, s0
	v_add_co_u32 v18, s0, v27, v18
	s_delay_alu instid0(VALU_DEP_3) | instskip(SKIP_3) | instid1(VALU_DEP_3)
	v_lshlrev_b64_e32 v[6:7], 2, v[20:21]
	v_lshlrev_b64_e32 v[20:21], 2, v[24:25]
	s_wait_alu 0xf1ff
	v_add_co_ci_u32_e64 v19, s0, v28, v19, s0
	v_add_co_u32 v23, s0, v27, v6
	s_wait_alu 0xf1ff
	v_add_co_ci_u32_e64 v24, s0, v28, v7, s0
	v_add_co_u32 v20, s0, v27, v20
	s_wait_alu 0xf1ff
	v_add_co_ci_u32_e64 v21, s0, v28, v21, s0
	s_clause 0x8
	global_load_b32 v1, v[0:1], off
	global_load_b32 v2, v[2:3], off
	;; [unrolled: 1-line block ×9, first 2 shown]
.LBB0_13:
	s_or_b32 exec_lo, exec_lo, s1
	s_wait_loadcnt 0x6
	v_pk_add_f16 v5, v2, v0
	v_pk_add_f16 v14, v2, v0 neg_lo:[0,1] neg_hi:[0,1]
	v_pk_add_f16 v15, v1, v2
	s_wait_loadcnt 0x4
	v_pk_add_f16 v16, v7, v11
	s_wait_loadcnt 0x3
	v_pk_add_f16 v18, v11, v3
	v_pk_fma_f16 v1, v5, 0.5, v1 op_sel_hi:[1,0,1] neg_lo:[1,0,0] neg_hi:[1,0,0]
	v_pk_mul_f16 v14, 0x3aee, v14 op_sel_hi:[0,1]
	v_pk_add_f16 v11, v11, v3 neg_lo:[0,1] neg_hi:[0,1]
	v_mad_u32_u24 v5, v22, 12, 0
	v_pk_add_f16 v0, v15, v0
	v_pk_fma_f16 v15, v18, 0.5, v7 op_sel_hi:[1,0,1] neg_lo:[1,0,0] neg_hi:[1,0,0]
	v_pk_add_f16 v2, v1, v14 op_sel:[0,1] op_sel_hi:[1,0] neg_lo:[0,1] neg_hi:[0,1]
	v_pk_add_f16 v1, v1, v14 op_sel:[0,1] op_sel_hi:[1,0]
	s_wait_loadcnt 0x0
	v_pk_add_f16 v14, v10, v6
	v_pk_mul_f16 v11, 0x3aee, v11 op_sel_hi:[0,1]
	v_pk_add_f16 v20, v6, v10 neg_lo:[0,1] neg_hi:[0,1]
	v_pk_add_f16 v17, v6, v4
	v_bfi_b32 v7, 0xffff, v1, v2
	v_bfi_b32 v19, 0xffff, v2, v1
	v_pk_add_f16 v6, v15, v11 op_sel:[0,1] op_sel_hi:[1,0]
	ds_store_2addr_b32 v5, v0, v7 offset1:1
	ds_store_b32 v5, v19 offset:8
	v_pk_add_f16 v7, v15, v11 op_sel:[0,1] op_sel_hi:[1,0] neg_lo:[0,1] neg_hi:[0,1]
	v_pk_fma_f16 v11, v14, 0.5, v4 op_sel_hi:[1,0,1] neg_lo:[1,0,0] neg_hi:[1,0,0]
	v_pk_mul_f16 v14, 0x3aee, v20 op_sel_hi:[0,1]
	v_pk_add_f16 v3, v16, v3
	v_pk_add_f16 v10, v10, v17
	v_lshrrev_b32_e32 v18, 16, v1
	v_mad_i32_i24 v15, v12, 12, 0
	v_pk_add_f16 v4, v11, v14 op_sel:[0,1] op_sel_hi:[1,0] neg_lo:[0,1] neg_hi:[0,1]
	v_pk_add_f16 v11, v11, v14 op_sel:[0,1] op_sel_hi:[1,0]
	v_bfi_b32 v16, 0xffff, v6, v7
	v_lshrrev_b32_e32 v23, 16, v6
	v_lshrrev_b32_e32 v24, 16, v3
	v_mad_i32_i24 v20, v13, 12, 0
	v_bfi_b32 v17, 0xffff, v11, v4
	v_lshrrev_b32_e32 v19, 16, v11
	v_lshrrev_b32_e32 v28, 16, v10
	v_cmp_gt_u32_e64 s0, 0x63, v22
	v_lshrrev_b32_e32 v45, 16, v4
	v_lshrrev_b32_e32 v37, 16, v7
	;; [unrolled: 1-line block ×3, first 2 shown]
	v_bfi_b32 v14, 0xffff, v7, v6
	v_bfi_b32 v21, 0xffff, v4, v11
	ds_store_2addr_b32 v15, v3, v16 offset1:1
	ds_store_b32 v15, v14 offset:8
	ds_store_2addr_b32 v20, v10, v17 offset1:1
	ds_store_b32 v20, v21 offset:8
	global_wb scope:SCOPE_SE
	s_wait_dscnt 0x0
	s_barrier_signal -1
	s_barrier_wait -1
	global_inv scope:SCOPE_SE
                                        ; implicit-def: $vgpr34
                                        ; implicit-def: $vgpr25
                                        ; implicit-def: $vgpr44
	s_and_saveexec_b32 s1, s0
	s_cbranch_execz .LBB0_15
; %bb.14:
	v_lshlrev_b32_e32 v0, 3, v22
	s_delay_alu instid0(VALU_DEP_1) | instskip(NEXT) | instid1(VALU_DEP_1)
	v_sub_nc_u32_e32 v2, v5, v0
	v_add_nc_u32_e32 v3, 0xc00, v2
	v_add_nc_u32_e32 v6, 0x200, v2
	;; [unrolled: 1-line block ×4, first 2 shown]
	ds_load_2addr_b32 v[0:1], v2 offset1:99
	ds_load_b32 v25, v2 offset:3960
	ds_load_2addr_b32 v[4:5], v3 offset0:24 offset1:123
	ds_load_2addr_b32 v[2:3], v6 offset0:70 offset1:169
	;; [unrolled: 1-line block ×4, first 2 shown]
	s_wait_dscnt 0x5
	v_lshrrev_b32_e32 v36, 16, v1
	s_wait_dscnt 0x4
	v_lshrrev_b32_e32 v34, 16, v25
	;; [unrolled: 2-line block ×3, first 2 shown]
	v_lshrrev_b32_e32 v44, 16, v5
	s_wait_dscnt 0x2
	v_lshrrev_b32_e32 v18, 16, v2
	v_lshrrev_b32_e32 v24, 16, v3
	s_wait_dscnt 0x1
	v_lshrrev_b32_e32 v37, 16, v6
	;; [unrolled: 3-line block ×3, first 2 shown]
	v_lshrrev_b32_e32 v45, 16, v11
.LBB0_15:
	s_wait_alu 0xfffe
	s_or_b32 exec_lo, exec_lo, s1
	v_and_b32_e32 v14, 0xff, v22
	s_delay_alu instid0(VALU_DEP_1) | instskip(NEXT) | instid1(VALU_DEP_1)
	v_mul_lo_u16 v15, 0xab, v14
	v_lshrrev_b16 v16, 9, v15
	s_delay_alu instid0(VALU_DEP_1) | instskip(NEXT) | instid1(VALU_DEP_1)
	v_mul_lo_u16 v15, v16, 3
	v_sub_nc_u16 v15, v22, v15
	s_delay_alu instid0(VALU_DEP_1) | instskip(NEXT) | instid1(VALU_DEP_1)
	v_and_b32_e32 v15, 0xff, v15
	v_mul_u32_u24_e32 v17, 10, v15
	s_delay_alu instid0(VALU_DEP_1)
	v_lshlrev_b32_e32 v17, 2, v17
	s_clause 0x2
	global_load_b128 v[46:49], v17, s[4:5]
	global_load_b128 v[50:53], v17, s[4:5] offset:16
	global_load_b64 v[54:55], v17, s[4:5] offset:32
	v_lshrrev_b32_e32 v17, 16, v0
	global_wb scope:SCOPE_SE
	s_wait_loadcnt 0x0
	s_barrier_signal -1
	s_barrier_wait -1
	global_inv scope:SCOPE_SE
	v_lshrrev_b32_e32 v20, 16, v46
	v_lshrrev_b32_e32 v29, 16, v50
	;; [unrolled: 1-line block ×6, first 2 shown]
	v_mul_f16_e32 v43, v36, v20
	v_mul_f16_e32 v35, v1, v20
	;; [unrolled: 1-line block ×7, first 2 shown]
	v_lshrrev_b32_e32 v26, 16, v48
	v_lshrrev_b32_e32 v27, 16, v49
	;; [unrolled: 1-line block ×4, first 2 shown]
	v_mul_f16_e32 v56, v18, v21
	v_mul_f16_e32 v33, v2, v21
	;; [unrolled: 1-line block ×5, first 2 shown]
	v_fma_f16 v43, v1, v46, -v43
	v_fmac_f16_e32 v35, v36, v46
	v_fmac_f16_e32 v29, v28, v51
	v_fma_f16 v28, v25, v55, -v64
	v_fmac_f16_e32 v20, v34, v55
	v_mul_f16_e32 v57, v24, v26
	v_mul_f16_e32 v32, v3, v26
	;; [unrolled: 1-line block ×8, first 2 shown]
	v_fma_f16 v42, v2, v47, -v56
	v_fmac_f16_e32 v33, v18, v47
	v_fma_f16 v39, v7, v50, -v59
	v_fma_f16 v34, v5, v54, -v63
	v_fmac_f16_e32 v21, v44, v54
	v_sub_f16_e32 v67, v43, v28
	v_sub_f16_e32 v59, v35, v20
	v_fma_f16 v41, v3, v48, -v57
	v_fmac_f16_e32 v32, v24, v48
	v_fmac_f16_e32 v31, v37, v49
	v_fma_f16 v38, v10, v51, -v60
	v_fma_f16 v37, v11, v52, -v61
	;; [unrolled: 1-line block ×3, first 2 shown]
	v_fmac_f16_e32 v26, v19, v53
	v_add_f16_e32 v1, v43, v28
	v_add_f16_e32 v4, v35, v20
	v_sub_f16_e32 v68, v42, v34
	v_sub_f16_e32 v61, v33, v21
	v_mul_f16_e32 v48, 0xb853, v59
	v_mul_f16_e32 v54, 0xb853, v67
	;; [unrolled: 1-line block ×4, first 2 shown]
	v_fma_f16 v40, v6, v49, -v58
	v_fmac_f16_e32 v30, v23, v50
	v_fmac_f16_e32 v27, v45, v52
	v_add_f16_e32 v2, v42, v34
	v_add_f16_e32 v3, v33, v21
	v_sub_f16_e32 v71, v41, v36
	v_sub_f16_e32 v65, v32, v26
	v_mul_f16_e32 v47, 0xbb47, v61
	v_mul_f16_e32 v53, 0xbb47, v68
	;; [unrolled: 1-line block ×4, first 2 shown]
	v_fmamk_f16 v11, v1, 0x3abb, v48
	v_fma_f16 v23, v4, 0x3abb, -v54
	v_fmamk_f16 v24, v1, 0x36a6, v60
	v_fma_f16 v25, v4, 0x36a6, -v70
	v_add_f16_e32 v5, v41, v36
	v_add_f16_e32 v7, v32, v26
	v_sub_f16_e32 v73, v40, v37
	v_sub_f16_e32 v62, v31, v27
	v_mul_f16_e32 v46, 0xbbeb, v65
	v_mul_f16_e32 v51, 0xbbeb, v71
	v_mul_f16_e32 v56, 0x3482, v65
	v_mul_f16_e32 v66, 0x3482, v71
	v_fmamk_f16 v74, v2, 0x36a6, v47
	v_fma_f16 v75, v3, 0x36a6, -v53
	v_fmamk_f16 v76, v2, 0xb93d, v57
	v_fma_f16 v77, v3, 0xb93d, -v69
	v_add_f16_e32 v11, v0, v11
	v_add_f16_e32 v23, v17, v23
	v_add_f16_e32 v24, v0, v24
	v_add_f16_e32 v25, v17, v25
	v_add_f16_e32 v6, v40, v37
	v_add_f16_e32 v10, v31, v27
	v_sub_f16_e32 v72, v39, v38
	v_sub_f16_e32 v63, v30, v29
	v_mul_f16_e32 v45, 0xba0c, v62
	v_mul_f16_e32 v50, 0xba0c, v73
	;; [unrolled: 1-line block ×4, first 2 shown]
	v_fmamk_f16 v78, v5, 0xb08e, v46
	v_fma_f16 v79, v7, 0xb08e, -v51
	v_fmamk_f16 v80, v5, 0xbbad, v56
	v_fma_f16 v81, v7, 0xbbad, -v66
	v_add_f16_e32 v11, v74, v11
	v_add_f16_e32 v23, v75, v23
	;; [unrolled: 1-line block ×6, first 2 shown]
	v_mul_f16_e32 v44, 0xb482, v63
	v_mul_f16_e32 v49, 0xb482, v72
	;; [unrolled: 1-line block ×4, first 2 shown]
	v_fmamk_f16 v82, v6, 0xb93d, v45
	v_fma_f16 v83, v10, 0xb93d, -v50
	v_fmamk_f16 v84, v6, 0xb08e, v55
	v_fma_f16 v85, v10, 0xb08e, -v64
	v_add_f16_e32 v11, v78, v11
	v_add_f16_e32 v23, v79, v23
	;; [unrolled: 1-line block ×4, first 2 shown]
	v_fmamk_f16 v86, v18, 0xbbad, v44
	v_fma_f16 v87, v19, 0xbbad, -v49
	v_fmamk_f16 v74, v18, 0x3abb, v52
	v_fma_f16 v75, v19, 0x3abb, -v58
	v_add_f16_e32 v11, v82, v11
	v_add_f16_e32 v76, v83, v23
	v_add_f16_e32 v24, v84, v24
	v_add_f16_e32 v77, v85, v25
	s_delay_alu instid0(VALU_DEP_4) | instskip(NEXT) | instid1(VALU_DEP_4)
	v_add_f16_e32 v23, v86, v11
	v_add_f16_e32 v25, v87, v76
	s_delay_alu instid0(VALU_DEP_4) | instskip(NEXT) | instid1(VALU_DEP_4)
	v_add_f16_e32 v11, v74, v24
	v_add_f16_e32 v24, v75, v77
	s_and_saveexec_b32 s1, s0
	s_cbranch_execz .LBB0_17
; %bb.16:
	v_mul_f16_e32 v74, 0xb482, v67
	v_mul_f16_e32 v75, 0x3853, v68
	;; [unrolled: 1-line block ×5, first 2 shown]
	v_fmamk_f16 v79, v4, 0xbbad, v74
	v_fmamk_f16 v83, v3, 0x3abb, v75
	v_mul_f16_e32 v81, 0x3853, v61
	v_mul_f16_e32 v85, 0xba0c, v67
	v_fma_f16 v86, v1, 0xbbad, -v80
	v_add_f16_e32 v79, v17, v79
	v_fmamk_f16 v87, v7, 0xb93d, v76
	v_mul_f16_e32 v82, 0xba0c, v65
	v_fma_f16 v88, v2, 0x3abb, -v81
	v_add_f16_e32 v86, v0, v86
	v_add_f16_e32 v79, v83, v79
	v_fmamk_f16 v83, v10, 0x36a6, v77
	v_fmamk_f16 v89, v4, 0xb93d, v85
	v_mul_f16_e32 v78, 0xbbeb, v72
	v_mul_f16_e32 v84, 0x3b47, v62
	v_add_f16_e32 v79, v87, v79
	v_mul_f16_e32 v87, 0x3beb, v68
	v_fma_f16 v90, v5, 0xb93d, -v82
	v_add_f16_e32 v86, v88, v86
	v_add_f16_e32 v88, v17, v89
	;; [unrolled: 1-line block ×3, first 2 shown]
	v_fmamk_f16 v83, v3, 0xb08e, v87
	v_mul_f16_e32 v89, 0xb853, v71
	v_add_f16_e32 v86, v90, v86
	v_fma_f16 v90, v6, 0x36a6, -v84
	v_mul_f16_e32 v91, 0xbbeb, v63
	v_add_f16_e32 v83, v83, v88
	v_fmamk_f16 v88, v7, 0x3abb, v89
	v_mul_f16_e32 v92, 0xb482, v73
	v_fmamk_f16 v93, v19, 0xb08e, v78
	v_mul_f16_e32 v94, 0xba0c, v59
	v_mul_f16_e32 v67, 0xbbeb, v67
	v_add_f16_e32 v86, v90, v86
	v_fma_f16 v90, v18, 0xb08e, -v91
	v_add_f16_e32 v83, v88, v83
	v_fmamk_f16 v88, v10, 0xbbad, v92
	v_add_f16_e32 v79, v93, v79
	v_fma_f16 v93, v1, 0xb93d, -v94
	v_mul_f16_e32 v96, 0x3beb, v61
	v_fmamk_f16 v98, v4, 0xb08e, v67
	v_mul_f16_e32 v68, 0x3482, v68
	v_add_f16_e32 v86, v90, v86
	v_add_f16_e32 v83, v88, v83
	;; [unrolled: 1-line block ×3, first 2 shown]
	v_fma_f16 v90, v2, 0xb08e, -v96
	v_mul_f16_e32 v93, 0xb853, v65
	v_add_f16_e32 v98, v17, v98
	v_fmamk_f16 v100, v3, 0xbbad, v68
	v_mul_f16_e32 v71, 0x3b47, v71
	v_mul_f16_e32 v95, 0x3b47, v72
	v_add_f16_e32 v88, v90, v88
	v_fma_f16 v90, v5, 0x3abb, -v93
	v_mul_f16_e32 v99, 0xb482, v62
	v_add_f16_e32 v98, v100, v98
	v_fmamk_f16 v100, v7, 0x36a6, v71
	v_mul_f16_e32 v73, 0xb853, v73
	v_fmamk_f16 v97, v19, 0x36a6, v95
	v_add_f16_e32 v88, v90, v88
	v_fma_f16 v90, v6, 0xbbad, -v99
	v_mul_f16_e32 v101, 0x3b47, v63
	v_add_f16_e32 v98, v100, v98
	v_fmamk_f16 v100, v10, 0x3abb, v73
	v_mul_f16_e32 v59, 0xbbeb, v59
	v_add_f16_e32 v88, v90, v88
	v_fma_f16 v90, v18, 0x36a6, -v101
	v_add_f16_e32 v83, v97, v83
	v_add_f16_e32 v97, v100, v98
	v_mul_f16_e32 v98, 0x36a6, v4
	v_mul_f16_e32 v61, 0x3482, v61
	v_add_f16_e32 v88, v90, v88
	v_fma_f16 v90, v1, 0xb08e, -v59
	v_mul_f16_e32 v72, 0xba0c, v72
	v_mul_f16_e32 v102, 0xb93d, v3
	v_add_f16_e32 v70, v70, v98
	v_fma_f16 v100, v2, 0xbbad, -v61
	v_add_f16_e32 v90, v0, v90
	v_mul_f16_e32 v65, 0x3b47, v65
	v_fmamk_f16 v98, v19, 0xb93d, v72
	v_add_f16_e32 v69, v69, v102
	v_add_f16_e32 v70, v17, v70
	;; [unrolled: 1-line block ×3, first 2 shown]
	v_fma_f16 v100, v5, 0x36a6, -v65
	v_add_f16_e32 v97, v98, v97
	v_mul_f16_e32 v62, 0xb853, v62
	v_mul_f16_e32 v98, 0xbbad, v7
	v_add_f16_e32 v69, v69, v70
	v_mul_f16_e32 v70, 0x36a6, v1
	v_add_f16_e32 v35, v17, v35
	v_add_f16_e32 v90, v100, v90
	v_fma_f16 v100, v6, 0x3abb, -v62
	v_add_f16_e32 v66, v66, v98
	v_mul_f16_e32 v98, 0xb93d, v2
	v_sub_f16_e32 v60, v70, v60
	v_add_f16_e32 v33, v35, v33
	v_add_f16_e32 v70, v100, v90
	v_mul_f16_e32 v90, 0xb08e, v10
	v_sub_f16_e32 v57, v98, v57
	v_add_f16_e32 v60, v0, v60
	v_add_f16_e32 v66, v66, v69
	v_mul_f16_e32 v69, 0xbbad, v5
	v_add_f16_e32 v32, v33, v32
	v_add_f16_e32 v64, v64, v90
	v_add_f16_e32 v57, v57, v60
	v_mul_f16_e32 v60, 0x3abb, v19
	v_sub_f16_e32 v56, v69, v56
	v_mul_f16_e32 v90, 0x3abb, v4
	v_add_f16_e32 v31, v32, v31
	v_mul_f16_e32 v69, 0xb08e, v6
	v_add_f16_e32 v58, v58, v60
	v_add_f16_e32 v56, v56, v57
	;; [unrolled: 1-line block ×3, first 2 shown]
	v_mul_f16_e32 v57, 0x36a6, v3
	v_mul_f16_e32 v60, 0x3abb, v1
	v_add_f16_e32 v30, v31, v30
	v_sub_f16_e32 v55, v69, v55
	v_add_f16_e32 v43, v0, v43
	v_add_f16_e32 v54, v17, v54
	;; [unrolled: 1-line block ×3, first 2 shown]
	v_mul_f16_e32 v57, 0x36a6, v2
	v_sub_f16_e32 v48, v60, v48
	v_add_f16_e32 v29, v30, v29
	v_add_f16_e32 v55, v55, v56
	v_mul_f16_e32 v56, 0x3abb, v18
	v_add_f16_e32 v42, v43, v42
	v_add_f16_e32 v53, v53, v54
	v_mul_f16_e32 v54, 0xb08e, v5
	v_add_f16_e32 v48, v0, v48
	v_sub_f16_e32 v32, v57, v47
	v_add_f16_e32 v27, v29, v27
	v_sub_f16_e32 v52, v56, v52
	v_mul_f16_e32 v56, 0xb08e, v7
	v_add_f16_e32 v41, v42, v41
	v_mul_f16_e32 v43, 0xb93d, v6
	v_add_f16_e32 v31, v32, v48
	v_sub_f16_e32 v32, v54, v46
	v_fma_f16 v30, v4, 0xbbad, -v74
	v_add_f16_e32 v26, v27, v26
	v_add_f16_e32 v51, v51, v56
	v_mul_f16_e32 v56, 0xb93d, v10
	v_add_f16_e32 v40, v41, v40
	v_mul_f16_e32 v42, 0xbbad, v18
	v_add_f16_e32 v31, v32, v31
	v_sub_f16_e32 v32, v43, v45
	v_add_f16_e32 v29, v17, v30
	v_fma_f16 v30, v3, 0x3abb, -v75
	v_add_f16_e32 v21, v26, v21
	v_mul_f16_e32 v35, 0xbbad, v19
	v_add_f16_e32 v33, v51, v53
	v_add_f16_e32 v41, v50, v56
	;; [unrolled: 1-line block ×4, first 2 shown]
	v_sub_f16_e32 v32, v42, v44
	v_add_f16_e32 v27, v30, v29
	v_fma_f16 v29, v7, 0xb93d, -v76
	v_fmac_f16_e32 v80, 0xbbad, v1
	v_add_f16_e32 v20, v21, v20
	v_fma_f16 v21, v4, 0xb93d, -v85
	v_add_f16_e32 v33, v41, v33
	v_add_f16_e32 v35, v49, v35
	;; [unrolled: 1-line block ×5, first 2 shown]
	v_fma_f16 v27, v10, 0x36a6, -v77
	v_add_f16_e32 v29, v0, v80
	v_fmac_f16_e32 v81, 0x3abb, v2
	v_add_f16_e32 v21, v17, v21
	v_fma_f16 v31, v3, 0xb08e, -v87
	v_fmac_f16_e32 v94, 0xb93d, v1
	v_fma_f16 v4, v4, 0xb08e, -v67
	v_fmac_f16_e32 v59, 0xb08e, v1
	v_add_f16_e32 v33, v35, v33
	v_add_f16_e32 v35, v38, v37
	;; [unrolled: 1-line block ×3, first 2 shown]
	v_fma_f16 v27, v19, 0xb08e, -v78
	v_add_f16_e32 v29, v81, v29
	v_fmac_f16_e32 v82, 0xb93d, v5
	v_add_f16_e32 v21, v31, v21
	v_add_f16_e32 v31, v0, v94
	v_fmac_f16_e32 v96, 0xb08e, v2
	v_add_f16_e32 v4, v17, v4
	v_fma_f16 v3, v3, 0xbbad, -v68
	v_add_f16_e32 v0, v0, v59
	v_fmac_f16_e32 v61, 0xbbad, v2
	v_add_f16_e32 v35, v35, v36
	v_add_f16_e32 v26, v27, v26
	;; [unrolled: 1-line block ×3, first 2 shown]
	v_fma_f16 v29, v7, 0x3abb, -v89
	v_add_f16_e32 v31, v96, v31
	v_fmac_f16_e32 v93, 0x3abb, v5
	v_add_f16_e32 v3, v3, v4
	v_fma_f16 v4, v7, 0x36a6, -v71
	v_add_f16_e32 v0, v61, v0
	v_fmac_f16_e32 v65, 0x36a6, v5
	v_mul_f16_e32 v63, 0xba0c, v63
	v_add_f16_e32 v34, v35, v34
	v_and_b32_e32 v5, 0xffff, v16
	v_fmac_f16_e32 v84, 0x36a6, v6
	v_add_f16_e32 v21, v29, v21
	v_fma_f16 v29, v10, 0xbbad, -v92
	v_add_f16_e32 v1, v93, v31
	v_fmac_f16_e32 v99, 0xbbad, v6
	v_add_f16_e32 v3, v4, v3
	v_fma_f16 v4, v10, 0x3abb, -v73
	v_add_f16_e32 v0, v65, v0
	v_fmac_f16_e32 v62, 0x3abb, v6
	v_fma_f16 v100, v18, 0xb93d, -v63
	v_add_f16_e32 v64, v64, v66
	v_add_f16_e32 v28, v34, v28
	v_mul_u32_u24_e32 v5, 0x84, v5
	v_lshlrev_b32_e32 v6, 2, v15
	v_add_f16_e32 v27, v84, v27
	v_fmac_f16_e32 v91, 0xb08e, v18
	v_add_f16_e32 v21, v29, v21
	v_fma_f16 v2, v19, 0x36a6, -v95
	v_add_f16_e32 v1, v99, v1
	v_fmac_f16_e32 v101, 0x36a6, v18
	v_add_f16_e32 v3, v4, v3
	v_fma_f16 v4, v19, 0xb93d, -v72
	v_add_f16_e32 v0, v62, v0
	v_fmac_f16_e32 v63, 0xb93d, v18
	v_add_f16_e32 v70, v100, v70
	v_add_f16_e32 v58, v58, v64
	;; [unrolled: 1-line block ×3, first 2 shown]
	v_add3_u32 v5, 0, v5, v6
	v_pack_b32_f16 v6, v28, v20
	v_pack_b32_f16 v7, v30, v33
	v_add_f16_e32 v27, v91, v27
	v_add_f16_e32 v2, v2, v21
	;; [unrolled: 1-line block ×5, first 2 shown]
	ds_store_2addr_b32 v5, v6, v7 offset1:3
	v_pack_b32_f16 v4, v52, v58
	v_pack_b32_f16 v6, v70, v97
	;; [unrolled: 1-line block ×7, first 2 shown]
	v_perm_b32 v2, v24, v11, 0x5040100
	v_perm_b32 v3, v25, v23, 0x5040100
	ds_store_2addr_b32 v5, v4, v6 offset0:6 offset1:9
	ds_store_2addr_b32 v5, v7, v10 offset0:12 offset1:15
	;; [unrolled: 1-line block ×4, first 2 shown]
	ds_store_b32 v5, v3 offset:120
.LBB0_17:
	s_wait_alu 0xfffe
	s_or_b32 exec_lo, exec_lo, s1
	v_mul_lo_u16 v0, 0xf9, v14
	v_and_b32_e32 v1, 0xff, v12
	global_wb scope:SCOPE_SE
	s_wait_dscnt 0x0
	s_barrier_signal -1
	s_barrier_wait -1
	v_lshrrev_b16 v14, 13, v0
	v_and_b32_e32 v0, 0xffff, v13
	v_mul_lo_u16 v1, 0xf9, v1
	global_inv scope:SCOPE_SE
	v_lshl_add_u32 v10, v12, 2, 0
	v_mul_lo_u16 v2, v14, 33
	v_mul_u32_u24_e32 v0, 0xf83f, v0
	v_lshrrev_b16 v21, 13, v1
	v_and_b32_e32 v14, 0xffff, v14
	s_delay_alu instid0(VALU_DEP_4) | instskip(NEXT) | instid1(VALU_DEP_4)
	v_sub_nc_u16 v1, v22, v2
	v_lshrrev_b32_e32 v26, 21, v0
	s_delay_alu instid0(VALU_DEP_4)
	v_mul_lo_u16 v0, v21, 33
	v_and_b32_e32 v21, 0xffff, v21
	v_mul_u32_u24_e32 v14, 0x18c, v14
	v_and_b32_e32 v32, 0xff, v1
	v_mul_lo_u16 v1, v26, 33
	v_sub_nc_u16 v0, v12, v0
	v_lshl_add_u32 v12, v13, 2, 0
	v_mul_u32_u24_e32 v26, 0x18c, v26
	v_lshlrev_b32_e32 v2, 3, v32
	v_sub_nc_u16 v1, v13, v1
	v_and_b32_e32 v33, 0xff, v0
	v_lshlrev_b32_e32 v32, 2, v32
	v_mul_u32_u24_e32 v21, 0x18c, v21
	global_load_b64 v[4:5], v2, s[4:5] offset:120
	v_and_b32_e32 v34, 0xffff, v1
	v_lshlrev_b32_e32 v0, 3, v33
	v_add3_u32 v41, 0, v14, v32
	v_lshlrev_b32_e32 v14, 2, v33
	s_delay_alu instid0(VALU_DEP_4)
	v_lshlrev_b32_e32 v1, 3, v34
	v_lshlrev_b32_e32 v32, 2, v34
	s_clause 0x1
	global_load_b64 v[6:7], v0, s[4:5] offset:120
	global_load_b64 v[17:18], v1, s[4:5] offset:120
	v_lshl_add_u32 v0, v22, 2, 0
	v_add3_u32 v21, 0, v21, v14
	v_add3_u32 v42, 0, v26, v32
	s_delay_alu instid0(VALU_DEP_3)
	v_add_nc_u32_e32 v3, 0xc00, v0
	v_add_nc_u32_e32 v1, 0x400, v0
	;; [unrolled: 1-line block ×3, first 2 shown]
	ds_load_b32 v16, v0
	ds_load_b32 v15, v10
	;; [unrolled: 1-line block ×3, first 2 shown]
	ds_load_2addr_b32 v[12:13], v3 offset0:79 offset1:200
	ds_load_2addr_b32 v[19:20], v1 offset0:107 offset1:228
	;; [unrolled: 1-line block ×3, first 2 shown]
	global_wb scope:SCOPE_SE
	s_wait_loadcnt_dscnt 0x0
	s_barrier_signal -1
	s_barrier_wait -1
	global_inv scope:SCOPE_SE
	v_lshrrev_b32_e32 v29, 16, v16
	v_lshrrev_b32_e32 v28, 16, v15
	;; [unrolled: 1-line block ×11, first 2 shown]
	s_delay_alu instid0(VALU_DEP_2) | instskip(SKIP_1) | instid1(VALU_DEP_3)
	v_mul_f16_e32 v14, v33, v36
	v_mul_f16_e32 v26, v33, v19
	;; [unrolled: 1-line block ×4, first 2 shown]
	v_lshrrev_b32_e32 v34, 16, v6
	v_lshrrev_b32_e32 v43, 16, v7
	;; [unrolled: 1-line block ×4, first 2 shown]
	v_fma_f16 v14, v4, v19, -v14
	v_fmac_f16_e32 v26, v4, v36
	v_fma_f16 v4, v5, v31, -v32
	v_fmac_f16_e32 v33, v5, v37
	v_mul_f16_e32 v5, v34, v38
	v_mul_f16_e32 v19, v34, v20
	;; [unrolled: 1-line block ×8, first 2 shown]
	v_fma_f16 v5, v6, v20, -v5
	v_fmac_f16_e32 v19, v6, v38
	v_fma_f16 v6, v7, v12, -v31
	v_fmac_f16_e32 v32, v7, v39
	v_fma_f16 v7, v17, v30, -v34
	v_fma_f16 v20, v13, v18, -v37
	v_fmac_f16_e32 v43, v35, v18
	v_add_f16_e32 v13, v14, v4
	v_add_f16_e32 v18, v29, v26
	;; [unrolled: 1-line block ×3, first 2 shown]
	v_fmac_f16_e32 v36, v17, v40
	v_add_f16_e32 v12, v16, v14
	v_sub_f16_e32 v17, v26, v33
	v_sub_f16_e32 v14, v14, v4
	v_fmac_f16_e32 v16, -0.5, v13
	v_add_f16_e32 v26, v18, v33
	v_fmac_f16_e32 v29, -0.5, v30
	v_add_f16_e32 v18, v5, v6
	v_sub_f16_e32 v34, v19, v32
	v_add_f16_e32 v31, v28, v19
	v_add_f16_e32 v19, v19, v32
	;; [unrolled: 1-line block ×3, first 2 shown]
	v_sub_f16_e32 v38, v36, v43
	v_add_f16_e32 v39, v27, v36
	v_add_f16_e32 v36, v36, v43
	;; [unrolled: 1-line block ×4, first 2 shown]
	v_sub_f16_e32 v5, v5, v6
	v_fmamk_f16 v13, v17, 0x3aee, v16
	v_fmamk_f16 v30, v14, 0xbaee, v29
	v_fmac_f16_e32 v15, -0.5, v18
	v_fmac_f16_e32 v28, -0.5, v19
	v_add_f16_e32 v35, v10, v7
	v_sub_f16_e32 v7, v7, v20
	v_fmac_f16_e32 v10, -0.5, v37
	v_fmac_f16_e32 v27, -0.5, v36
	v_fmac_f16_e32 v16, 0xbaee, v17
	v_fmac_f16_e32 v29, 0x3aee, v14
	v_add_f16_e32 v17, v4, v6
	v_add_f16_e32 v33, v31, v32
	v_pack_b32_f16 v4, v12, v26
	v_fmamk_f16 v14, v34, 0x3aee, v15
	v_fmamk_f16 v32, v5, 0xbaee, v28
	v_fmac_f16_e32 v28, 0x3aee, v5
	v_pack_b32_f16 v5, v13, v30
	v_fmac_f16_e32 v15, 0xbaee, v34
	v_add_f16_e32 v18, v35, v20
	v_add_f16_e32 v31, v39, v43
	v_fmamk_f16 v19, v38, 0x3aee, v10
	v_fmamk_f16 v34, v7, 0xbaee, v27
	v_fmac_f16_e32 v10, 0xbaee, v38
	v_fmac_f16_e32 v27, 0x3aee, v7
	v_pack_b32_f16 v6, v16, v29
	v_pack_b32_f16 v7, v17, v33
	ds_store_2addr_b32 v41, v4, v5 offset1:33
	v_pack_b32_f16 v4, v14, v32
	v_pack_b32_f16 v5, v15, v28
	;; [unrolled: 1-line block ×5, first 2 shown]
	ds_store_b32 v41, v6 offset:264
	ds_store_2addr_b32 v21, v7, v4 offset1:33
	ds_store_b32 v21, v5 offset:264
	ds_store_2addr_b32 v42, v20, v35 offset1:33
	ds_store_b32 v42, v36 offset:264
	global_wb scope:SCOPE_SE
	s_wait_dscnt 0x0
	s_barrier_signal -1
	s_barrier_wait -1
	global_inv scope:SCOPE_SE
	s_and_saveexec_b32 s1, s0
	s_cbranch_execnz .LBB0_20
; %bb.18:
	s_wait_alu 0xfffe
	s_or_b32 exec_lo, exec_lo, s1
	s_and_b32 s0, vcc_lo, s0
	s_wait_alu 0xfffe
	s_and_saveexec_b32 s1, s0
	s_cbranch_execnz .LBB0_21
.LBB0_19:
	s_endpgm
.LBB0_20:
	ds_load_2addr_b32 v[12:13], v0 offset1:99
	ds_load_2addr_b32 v[10:11], v3 offset0:24 offset1:123
	v_add_nc_u32_e32 v3, 0x200, v0
	ds_load_b32 v23, v0 offset:3960
	ds_load_2addr_b32 v[14:15], v1 offset0:140 offset1:239
	ds_load_2addr_b32 v[18:19], v2 offset0:82 offset1:181
	;; [unrolled: 1-line block ×3, first 2 shown]
	s_wait_dscnt 0x5
	v_lshrrev_b32_e32 v26, 16, v12
	s_wait_dscnt 0x4
	v_lshrrev_b32_e32 v27, 16, v10
	v_lshrrev_b32_e32 v24, 16, v11
	s_wait_dscnt 0x3
	v_lshrrev_b32_e32 v25, 16, v23
	;; [unrolled: 3-line block ×4, first 2 shown]
	s_wait_dscnt 0x0
	v_lshrrev_b32_e32 v29, 16, v16
	v_lshrrev_b32_e32 v33, 16, v17
	;; [unrolled: 1-line block ×3, first 2 shown]
	s_wait_alu 0xfffe
	s_or_b32 exec_lo, exec_lo, s1
	s_and_b32 s0, vcc_lo, s0
	s_wait_alu 0xfffe
	s_and_saveexec_b32 s1, s0
	s_cbranch_execz .LBB0_19
.LBB0_21:
	v_mul_u32_u24_e32 v0, 10, v22
	v_add_nc_u32_e32 v48, 0xc6, v22
	v_add_nc_u32_e32 v49, 0x129, v22
	v_mad_co_u64_u32 v[35:36], null, s8, v22, 0
	s_delay_alu instid0(VALU_DEP_4) | instskip(NEXT) | instid1(VALU_DEP_4)
	v_lshlrev_b32_e32 v4, 2, v0
	v_mad_co_u64_u32 v[39:40], null, s8, v48, 0
	v_add_nc_u32_e32 v47, 0x63, v22
	v_mad_co_u64_u32 v[41:42], null, s8, v49, 0
	s_clause 0x2
	global_load_b128 v[0:3], v4, s[4:5] offset:384
	global_load_b64 v[20:21], v4, s[4:5] offset:416
	global_load_b128 v[4:7], v4, s[4:5] offset:400
	v_add_nc_u32_e32 v50, 0x18c, v22
	v_mad_co_u64_u32 v[37:38], null, s8, v47, 0
	s_delay_alu instid0(VALU_DEP_2) | instskip(NEXT) | instid1(VALU_DEP_2)
	v_mad_co_u64_u32 v[43:44], null, s8, v50, 0
	v_mad_co_u64_u32 v[45:46], null, s9, v22, v[36:37]
	v_mov_b32_e32 v36, v40
	v_mov_b32_e32 v40, v42
	v_mad_co_u64_u32 v[46:47], null, s9, v47, v[38:39]
	v_add_nc_u32_e32 v51, 0x1ef, v22
	s_delay_alu instid0(VALU_DEP_4)
	v_mad_co_u64_u32 v[47:48], null, s9, v48, v[36:37]
	v_mov_b32_e32 v36, v45
	v_mad_co_u64_u32 v[48:49], null, s9, v49, v[40:41]
	v_mad_co_u64_u32 v[44:45], null, s9, v50, v[44:45]
	v_mov_b32_e32 v38, v46
	v_mov_b32_e32 v40, v47
	v_lshlrev_b64_e32 v[35:36], 2, v[35:36]
	v_add_co_u32 v49, vcc_lo, s10, v8
	v_mov_b32_e32 v42, v48
	s_wait_alu 0xfffd
	v_add_co_ci_u32_e32 v52, vcc_lo, s11, v9, vcc_lo
	s_delay_alu instid0(VALU_DEP_3) | instskip(SKIP_2) | instid1(VALU_DEP_3)
	v_add_co_u32 v35, vcc_lo, v49, v35
	v_lshlrev_b64_e32 v[39:40], 2, v[39:40]
	s_wait_alu 0xfffd
	v_add_co_ci_u32_e32 v36, vcc_lo, v52, v36, vcc_lo
	v_mad_co_u64_u32 v[8:9], null, s8, v51, 0
	v_lshlrev_b64_e32 v[41:42], 2, v[41:42]
	s_wait_loadcnt 0x2
	v_lshrrev_b32_e32 v45, 16, v0
	s_wait_loadcnt 0x1
	v_lshrrev_b32_e32 v53, 16, v21
	v_lshrrev_b32_e32 v46, 16, v1
	;; [unrolled: 1-line block ×5, first 2 shown]
	s_wait_loadcnt 0x0
	v_lshrrev_b32_e32 v54, 16, v4
	v_lshrrev_b32_e32 v55, 16, v5
	v_mul_f16_e32 v58, v30, v45
	v_mul_f16_e32 v59, v25, v53
	;; [unrolled: 1-line block ×3, first 2 shown]
	v_lshrrev_b32_e32 v57, 16, v7
	v_mul_f16_e32 v53, v23, v53
	v_mul_f16_e32 v60, v29, v46
	;; [unrolled: 1-line block ×13, first 2 shown]
	v_fma_f16 v13, v13, v0, -v58
	v_fma_f16 v23, v23, v21, -v59
	v_fmac_f16_e32 v45, v30, v0
	v_lshrrev_b32_e32 v56, 16, v6
	v_mul_f16_e32 v63, v27, v57
	v_mul_f16_e32 v57, v10, v57
	v_fma_f16 v0, v16, v1, -v60
	v_fma_f16 v11, v11, v20, -v61
	v_fmac_f16_e32 v50, v24, v20
	v_fmac_f16_e32 v46, v29, v1
	v_fma_f16 v1, v17, v2, -v62
	v_fmac_f16_e32 v47, v33, v2
	v_fma_f16 v2, v14, v3, -v64
	;; [unrolled: 2-line block ×3, first 2 shown]
	v_fmac_f16_e32 v55, v31, v5
	v_fmac_f16_e32 v54, v28, v4
	v_sub_f16_e32 v4, v13, v23
	v_add_f16_e32 v24, v13, v23
	v_add_f16_e32 v13, v12, v13
	;; [unrolled: 1-line block ×3, first 2 shown]
	v_mul_f16_e32 v65, v34, v56
	v_fmac_f16_e32 v57, v27, v7
	v_sub_f16_e32 v14, v0, v11
	v_add_f16_e32 v27, v0, v11
	v_add_f16_e32 v0, v13, v0
	;; [unrolled: 1-line block ×3, first 2 shown]
	v_mul_f16_e32 v56, v19, v56
	v_fmac_f16_e32 v53, v25, v21
	v_fma_f16 v10, v10, v7, -v63
	v_fma_f16 v7, v19, v6, -v65
	v_add_f16_e32 v0, v0, v1
	v_add_f16_e32 v13, v13, v47
	v_fmac_f16_e32 v56, v34, v6
	v_fma_f16 v6, v18, v5, -v67
	v_sub_f16_e32 v25, v45, v53
	v_sub_f16_e32 v18, v2, v7
	v_add_f16_e32 v33, v2, v7
	v_add_f16_e32 v0, v0, v2
	;; [unrolled: 1-line block ×4, first 2 shown]
	v_sub_f16_e32 v16, v1, v10
	v_sub_f16_e32 v20, v3, v6
	;; [unrolled: 1-line block ×6, first 2 shown]
	v_mul_f16_e32 v58, 0xb482, v4
	v_mul_f16_e32 v63, 0xb482, v25
	;; [unrolled: 1-line block ×10, first 2 shown]
	v_add_f16_e32 v0, v0, v3
	v_add_f16_e32 v2, v2, v54
	;; [unrolled: 1-line block ×8, first 2 shown]
	v_mul_f16_e32 v59, 0x3853, v14
	v_mul_f16_e32 v60, 0xba0c, v16
	;; [unrolled: 1-line block ×40, first 2 shown]
	v_fma_f16 v101, v24, 0xbbad, -v63
	v_fma_f16 v108, v24, 0xb93d, -v71
	;; [unrolled: 1-line block ×5, first 2 shown]
	v_fmamk_f16 v47, v5, 0x3abb, v4
	v_add_f16_e32 v0, v0, v6
	v_add_f16_e32 v2, v2, v55
	v_fmamk_f16 v96, v5, 0xbbad, v58
	v_fmamk_f16 v97, v15, 0x3abb, v59
	v_fmamk_f16 v98, v17, 0xb93d, v60
	v_fmamk_f16 v99, v19, 0x36a6, v61
	v_fmamk_f16 v100, v21, 0xb08e, v62
	v_fma_f16 v102, v27, 0x3abb, -v64
	v_fmamk_f16 v103, v5, 0xb93d, v66
	v_fmamk_f16 v104, v15, 0xb08e, v67
	v_fmamk_f16 v105, v17, 0x3abb, v68
	v_fmamk_f16 v106, v19, 0xbbad, v69
	v_fmamk_f16 v107, v21, 0x36a6, v70
	v_fma_f16 v109, v27, 0xb08e, -v72
	;; [unrolled: 6-line block ×3, first 2 shown]
	v_fmamk_f16 v117, v5, 0x36a6, v82
	v_fmamk_f16 v118, v15, 0xb93d, v83
	v_fmac_f16_e32 v63, 0xbbad, v24
	v_fmac_f16_e32 v71, 0xb93d, v24
	;; [unrolled: 1-line block ×5, first 2 shown]
	v_fmamk_f16 v24, v17, 0xbbad, v84
	v_fmamk_f16 v121, v19, 0xb08e, v85
	;; [unrolled: 1-line block ×3, first 2 shown]
	v_fma_f16 v1, v27, 0xb93d, -v88
	v_fma_f16 v58, v5, 0xbbad, -v58
	;; [unrolled: 1-line block ×6, first 2 shown]
	v_fmamk_f16 v5, v15, 0x36a6, v14
	v_fma_f16 v59, v15, 0x3abb, -v59
	v_fma_f16 v67, v15, 0xb08e, -v67
	v_fma_f16 v75, v15, 0xbbad, -v75
	v_fma_f16 v83, v15, 0xb93d, -v83
	v_fma_f16 v14, v15, 0x36a6, -v14
	v_fmamk_f16 v15, v17, 0xb08e, v16
	v_fma_f16 v60, v17, 0xb93d, -v60
	v_fma_f16 v68, v17, 0x3abb, -v68
	v_fma_f16 v76, v17, 0x36a6, -v76
	v_fma_f16 v84, v17, 0xbbad, -v84
	v_fma_f16 v16, v17, 0xb08e, -v16
	;; [unrolled: 6-line block ×4, first 2 shown]
	v_fma_f16 v21, v27, 0x36a6, -v28
	v_fmac_f16_e32 v64, 0x3abb, v27
	v_fmac_f16_e32 v72, 0xb08e, v27
	;; [unrolled: 1-line block ×5, first 2 shown]
	v_fma_f16 v27, v29, 0xb93d, -v65
	v_fmac_f16_e32 v65, 0xb93d, v29
	v_fma_f16 v123, v29, 0x3abb, -v73
	v_fmac_f16_e32 v73, 0x3abb, v29
	;; [unrolled: 2-line block ×15, first 2 shown]
	v_add_f16_e32 v45, v12, v101
	v_add_f16_e32 v101, v12, v108
	;; [unrolled: 1-line block ×30, first 2 shown]
	v_add_f16_e64 v1, v1, v129
	v_add_f16_e32 v5, v5, v17
	v_add_f16_e64 v15, v15, v130
	v_add_f16_e32 v66, v26, v66
	v_add_f16_e32 v96, v96, v118
	;; [unrolled: 1-line block ×3, first 2 shown]
	v_add_nc_u32_e32 v11, 0x252, v22
	v_lshlrev_b64_e32 v[37:38], 2, v[37:38]
	v_add_f16_e32 v74, v26, v74
	v_add_f16_e32 v82, v26, v82
	;; [unrolled: 1-line block ×12, first 2 shown]
	v_add_f16_e64 v10, v1, v133
	v_add_f16_e32 v1, v5, v19
	v_add_f16_e64 v5, v15, v134
	v_add_f16_e32 v54, v66, v67
	v_add_f16_e32 v24, v96, v24
	;; [unrolled: 1-line block ×3, first 2 shown]
	v_add_co_u32 v37, vcc_lo, v49, v37
	v_add_f16_e32 v14, v26, v27
	v_add_f16_e32 v25, v25, v105
	;; [unrolled: 1-line block ×6, first 2 shown]
	v_pack_b32_f16 v0, v0, v2
	s_wait_alu 0xfffd
	v_add_co_ci_u32_e32 v38, vcc_lo, v52, v38, vcc_lo
	v_add_f16_e32 v6, v47, v65
	v_add_f16_e32 v3, v3, v61
	v_pack_b32_f16 v1, v5, v1
	v_add_f16_e32 v21, v54, v68
	v_add_f16_e32 v24, v24, v121
	;; [unrolled: 1-line block ×6, first 2 shown]
	v_add_f16_e64 v27, v28, v128
	s_clause 0x1
	global_store_b32 v[35:36], v0, off
	global_store_b32 v[37:38], v1, off
	v_add_co_u32 v0, vcc_lo, v49, v39
	v_add_f16_e32 v6, v6, v31
	v_add_f16_e32 v15, v3, v62
	v_lshlrev_b64_e32 v[2:3], 2, v[43:44]
	v_add_f16_e32 v63, v79, v80
	v_add_f16_e32 v64, v82, v83
	;; [unrolled: 1-line block ×3, first 2 shown]
	s_wait_alu 0xfffd
	v_add_co_ci_u32_e32 v1, vcc_lo, v52, v40, vcc_lo
	v_add_f16_e32 v7, v21, v69
	v_add_f16_e32 v24, v24, v122
	;; [unrolled: 1-line block ×3, first 2 shown]
	v_mov_b32_e32 v4, v9
	v_add_co_u32 v5, vcc_lo, v49, v41
	v_add_f16_e32 v16, v16, v107
	v_add_f16_e64 v18, v25, v131
	v_add_f16_e32 v25, v26, v114
	v_add_f16_e64 v26, v27, v132
	v_add_f16_e32 v19, v6, v92
	s_wait_alu 0xfffd
	v_add_co_ci_u32_e32 v6, vcc_lo, v52, v42, vcc_lo
	v_add_f16_e32 v48, v63, v81
	v_add_f16_e32 v54, v64, v84
	;; [unrolled: 1-line block ×4, first 2 shown]
	v_add_co_u32 v2, vcc_lo, v49, v2
	v_add_f16_e32 v27, v7, v70
	v_pack_b32_f16 v7, v10, v24
	v_mad_co_u64_u32 v[9:10], null, s9, v51, v[4:5]
	s_wait_alu 0xfffd
	v_add_co_ci_u32_e32 v3, vcc_lo, v52, v3, vcc_lo
	v_pack_b32_f16 v10, v18, v16
	v_pack_b32_f16 v4, v26, v25
	v_add_f16_e32 v14, v14, v29
	v_add_f16_e32 v28, v48, v90
	;; [unrolled: 1-line block ×6, first 2 shown]
	s_clause 0x2
	global_store_b32 v[0:1], v7, off
	global_store_b32 v[5:6], v4, off
	;; [unrolled: 1-line block ×3, first 2 shown]
	v_add_nc_u32_e32 v10, 0x2b5, v22
	v_add_f16_e32 v23, v28, v94
	v_add_f16_e32 v28, v29, v86
	;; [unrolled: 1-line block ×4, first 2 shown]
	v_add_nc_u32_e32 v12, 0x318, v22
	v_add_f16_e32 v13, v13, v99
	v_mad_co_u64_u32 v[2:3], null, s8, v11, 0
	v_mad_co_u64_u32 v[4:5], null, s8, v10, 0
	s_delay_alu instid0(VALU_DEP_4) | instskip(NEXT) | instid1(VALU_DEP_4)
	v_mad_co_u64_u32 v[6:7], null, s8, v12, 0
	v_add_f16_e32 v13, v13, v100
	v_add_f16_e32 v14, v14, v33
	v_lshlrev_b64_e32 v[0:1], 2, v[8:9]
	v_add_f16_e32 v58, v71, v72
	v_mad_co_u64_u32 v[8:9], null, s9, v11, v[3:4]
	s_delay_alu instid0(VALU_DEP_4) | instskip(SKIP_4) | instid1(VALU_DEP_4)
	v_pack_b32_f16 v13, v14, v13
	v_add_nc_u32_e32 v14, 0x37b, v22
	v_mad_co_u64_u32 v[9:10], null, s9, v10, v[5:6]
	v_mov_b32_e32 v5, v7
	v_add_co_u32 v0, vcc_lo, v49, v0
	v_mad_co_u64_u32 v[10:11], null, s8, v14, 0
	v_mov_b32_e32 v3, v8
	s_delay_alu instid0(VALU_DEP_4)
	v_mad_co_u64_u32 v[7:8], null, s9, v12, v[5:6]
	v_add_nc_u32_e32 v12, 0x3de, v22
	s_wait_alu 0xfffd
	v_add_co_ci_u32_e32 v1, vcc_lo, v52, v1, vcc_lo
	v_mov_b32_e32 v5, v9
	v_add_f16_e32 v59, v74, v75
	v_mad_co_u64_u32 v[8:9], null, s8, v12, 0
	global_store_b32 v[0:1], v13, off
	v_lshlrev_b64_e32 v[0:1], 2, v[2:3]
	v_mov_b32_e32 v2, v11
	v_lshlrev_b64_e32 v[4:5], 2, v[4:5]
	v_add_f16_e32 v45, v58, v73
	v_add_f16_e32 v47, v59, v76
	v_lshlrev_b64_e32 v[6:7], 2, v[6:7]
	v_mad_co_u64_u32 v[2:3], null, s9, v14, v[2:3]
	v_mov_b32_e32 v3, v9
	v_add_co_u32 v0, vcc_lo, v49, v0
	s_wait_alu 0xfffd
	v_add_co_ci_u32_e32 v1, vcc_lo, v52, v1, vcc_lo
	s_delay_alu instid0(VALU_DEP_3)
	v_mad_co_u64_u32 v[12:13], null, s9, v12, v[3:4]
	v_mov_b32_e32 v11, v2
	v_add_f16_e32 v17, v45, v46
	v_add_co_u32 v2, vcc_lo, v49, v4
	v_add_f16_e32 v21, v47, v77
	s_wait_alu 0xfffd
	v_add_co_ci_u32_e32 v3, vcc_lo, v52, v5, vcc_lo
	v_mov_b32_e32 v9, v12
	v_lshlrev_b64_e32 v[4:5], 2, v[10:11]
	v_add_f16_e32 v17, v17, v93
	v_add_co_u32 v6, vcc_lo, v49, v6
	s_delay_alu instid0(VALU_DEP_4)
	v_lshlrev_b64_e32 v[8:9], 2, v[8:9]
	v_add_f16_e32 v21, v21, v78
	s_wait_alu 0xfffd
	v_add_co_ci_u32_e32 v7, vcc_lo, v52, v7, vcc_lo
	v_add_co_u32 v4, vcc_lo, v49, v4
	v_pack_b32_f16 v14, v19, v15
	v_pack_b32_f16 v13, v17, v27
	s_wait_alu 0xfffd
	v_add_co_ci_u32_e32 v5, vcc_lo, v52, v5, vcc_lo
	v_pack_b32_f16 v10, v23, v21
	v_add_co_u32 v8, vcc_lo, v49, v8
	v_pack_b32_f16 v11, v29, v28
	s_wait_alu 0xfffd
	v_add_co_ci_u32_e32 v9, vcc_lo, v52, v9, vcc_lo
	v_pack_b32_f16 v12, v30, v20
	s_clause 0x4
	global_store_b32 v[0:1], v14, off
	global_store_b32 v[2:3], v13, off
	;; [unrolled: 1-line block ×5, first 2 shown]
	s_nop 0
	s_sendmsg sendmsg(MSG_DEALLOC_VGPRS)
	s_endpgm
	.section	.rodata,"a",@progbits
	.p2align	6, 0x0
	.amdhsa_kernel fft_rtc_fwd_len1089_factors_3_11_3_11_wgs_121_tpt_121_half_ip_CI_sbrr_dirReg
		.amdhsa_group_segment_fixed_size 0
		.amdhsa_private_segment_fixed_size 0
		.amdhsa_kernarg_size 88
		.amdhsa_user_sgpr_count 2
		.amdhsa_user_sgpr_dispatch_ptr 0
		.amdhsa_user_sgpr_queue_ptr 0
		.amdhsa_user_sgpr_kernarg_segment_ptr 1
		.amdhsa_user_sgpr_dispatch_id 0
		.amdhsa_user_sgpr_private_segment_size 0
		.amdhsa_wavefront_size32 1
		.amdhsa_uses_dynamic_stack 0
		.amdhsa_enable_private_segment 0
		.amdhsa_system_sgpr_workgroup_id_x 1
		.amdhsa_system_sgpr_workgroup_id_y 0
		.amdhsa_system_sgpr_workgroup_id_z 0
		.amdhsa_system_sgpr_workgroup_info 0
		.amdhsa_system_vgpr_workitem_id 0
		.amdhsa_next_free_vgpr 135
		.amdhsa_next_free_sgpr 35
		.amdhsa_reserve_vcc 1
		.amdhsa_float_round_mode_32 0
		.amdhsa_float_round_mode_16_64 0
		.amdhsa_float_denorm_mode_32 3
		.amdhsa_float_denorm_mode_16_64 3
		.amdhsa_fp16_overflow 0
		.amdhsa_workgroup_processor_mode 1
		.amdhsa_memory_ordered 1
		.amdhsa_forward_progress 0
		.amdhsa_round_robin_scheduling 0
		.amdhsa_exception_fp_ieee_invalid_op 0
		.amdhsa_exception_fp_denorm_src 0
		.amdhsa_exception_fp_ieee_div_zero 0
		.amdhsa_exception_fp_ieee_overflow 0
		.amdhsa_exception_fp_ieee_underflow 0
		.amdhsa_exception_fp_ieee_inexact 0
		.amdhsa_exception_int_div_zero 0
	.end_amdhsa_kernel
	.text
.Lfunc_end0:
	.size	fft_rtc_fwd_len1089_factors_3_11_3_11_wgs_121_tpt_121_half_ip_CI_sbrr_dirReg, .Lfunc_end0-fft_rtc_fwd_len1089_factors_3_11_3_11_wgs_121_tpt_121_half_ip_CI_sbrr_dirReg
                                        ; -- End function
	.section	.AMDGPU.csdata,"",@progbits
; Kernel info:
; codeLenInByte = 9504
; NumSgprs: 37
; NumVgprs: 135
; ScratchSize: 0
; MemoryBound: 0
; FloatMode: 240
; IeeeMode: 1
; LDSByteSize: 0 bytes/workgroup (compile time only)
; SGPRBlocks: 4
; VGPRBlocks: 16
; NumSGPRsForWavesPerEU: 37
; NumVGPRsForWavesPerEU: 135
; Occupancy: 10
; WaveLimiterHint : 1
; COMPUTE_PGM_RSRC2:SCRATCH_EN: 0
; COMPUTE_PGM_RSRC2:USER_SGPR: 2
; COMPUTE_PGM_RSRC2:TRAP_HANDLER: 0
; COMPUTE_PGM_RSRC2:TGID_X_EN: 1
; COMPUTE_PGM_RSRC2:TGID_Y_EN: 0
; COMPUTE_PGM_RSRC2:TGID_Z_EN: 0
; COMPUTE_PGM_RSRC2:TIDIG_COMP_CNT: 0
	.text
	.p2alignl 7, 3214868480
	.fill 96, 4, 3214868480
	.type	__hip_cuid_fed5786bd208dabb,@object ; @__hip_cuid_fed5786bd208dabb
	.section	.bss,"aw",@nobits
	.globl	__hip_cuid_fed5786bd208dabb
__hip_cuid_fed5786bd208dabb:
	.byte	0                               ; 0x0
	.size	__hip_cuid_fed5786bd208dabb, 1

	.ident	"AMD clang version 19.0.0git (https://github.com/RadeonOpenCompute/llvm-project roc-6.4.0 25133 c7fe45cf4b819c5991fe208aaa96edf142730f1d)"
	.section	".note.GNU-stack","",@progbits
	.addrsig
	.addrsig_sym __hip_cuid_fed5786bd208dabb
	.amdgpu_metadata
---
amdhsa.kernels:
  - .args:
      - .actual_access:  read_only
        .address_space:  global
        .offset:         0
        .size:           8
        .value_kind:     global_buffer
      - .offset:         8
        .size:           8
        .value_kind:     by_value
      - .actual_access:  read_only
        .address_space:  global
        .offset:         16
        .size:           8
        .value_kind:     global_buffer
      - .actual_access:  read_only
        .address_space:  global
        .offset:         24
        .size:           8
        .value_kind:     global_buffer
      - .offset:         32
        .size:           8
        .value_kind:     by_value
      - .actual_access:  read_only
        .address_space:  global
        .offset:         40
        .size:           8
        .value_kind:     global_buffer
      - .actual_access:  read_only
        .address_space:  global
        .offset:         48
        .size:           8
        .value_kind:     global_buffer
      - .offset:         56
        .size:           4
        .value_kind:     by_value
      - .actual_access:  read_only
        .address_space:  global
        .offset:         64
        .size:           8
        .value_kind:     global_buffer
      - .actual_access:  read_only
        .address_space:  global
        .offset:         72
        .size:           8
        .value_kind:     global_buffer
      - .address_space:  global
        .offset:         80
        .size:           8
        .value_kind:     global_buffer
    .group_segment_fixed_size: 0
    .kernarg_segment_align: 8
    .kernarg_segment_size: 88
    .language:       OpenCL C
    .language_version:
      - 2
      - 0
    .max_flat_workgroup_size: 121
    .name:           fft_rtc_fwd_len1089_factors_3_11_3_11_wgs_121_tpt_121_half_ip_CI_sbrr_dirReg
    .private_segment_fixed_size: 0
    .sgpr_count:     37
    .sgpr_spill_count: 0
    .symbol:         fft_rtc_fwd_len1089_factors_3_11_3_11_wgs_121_tpt_121_half_ip_CI_sbrr_dirReg.kd
    .uniform_work_group_size: 1
    .uses_dynamic_stack: false
    .vgpr_count:     135
    .vgpr_spill_count: 0
    .wavefront_size: 32
    .workgroup_processor_mode: 1
amdhsa.target:   amdgcn-amd-amdhsa--gfx1201
amdhsa.version:
  - 1
  - 2
...

	.end_amdgpu_metadata
